;; amdgpu-corpus repo=ROCm/rocm-examples kind=compiled arch=gfx1030 opt=O3
	.amdgcn_target "amdgcn-amd-amdhsa--gfx1030"
	.amdhsa_code_object_version 6
	.text
	.protected	_Z16histogram_kernelPjjjjP13__hip_texture ; -- Begin function _Z16histogram_kernelPjjjjP13__hip_texture
	.globl	_Z16histogram_kernelPjjjjP13__hip_texture
	.p2align	8
	.type	_Z16histogram_kernelPjjjjP13__hip_texture,@function
_Z16histogram_kernelPjjjjP13__hip_texture: ; @_Z16histogram_kernelPjjjjP13__hip_texture
; %bb.0:
	s_clause 0x1
	s_load_dword s0, s[4:5], 0x2c
	s_load_dwordx4 s[8:11], s[4:5], 0x8
	s_waitcnt lgkmcnt(0)
	s_lshr_b32 s1, s0, 16
	s_and_b32 s0, s0, 0xffff
	v_mad_u64_u32 v[2:3], null, s6, s0, v[0:1]
	v_mad_u64_u32 v[0:1], null, s7, s1, v[1:2]
	v_cmp_gt_u32_e32 vcc_lo, s8, v2
	v_cmp_gt_u32_e64 s0, s9, v0
	s_and_b32 s0, vcc_lo, s0
	s_and_saveexec_b32 s1, s0
	s_cbranch_execz .LBB0_2
; %bb.1:
	v_cvt_f32_u32_e32 v1, v2
	v_cvt_f32_u32_e32 v2, s8
	;; [unrolled: 1-line block ×4, first 2 shown]
	s_load_dwordx2 s[2:3], s[4:5], 0x18
	v_div_scale_f32 v4, null, v2, v2, v1
	v_div_scale_f32 v5, null, v3, v3, v0
	v_div_scale_f32 v10, vcc_lo, v1, v2, v1
	v_rcp_f32_e32 v6, v4
	v_rcp_f32_e32 v7, v5
	v_fma_f32 v8, -v4, v6, 1.0
	v_fma_f32 v9, -v5, v7, 1.0
	s_waitcnt lgkmcnt(0)
	s_clause 0x2
	s_load_dwordx4 s[20:23], s[2:3], 0x30
	s_load_dword s1, s[2:3], 0x28
	s_load_dwordx8 s[12:19], s[2:3], 0x0
	v_fmac_f32_e32 v6, v8, v6
	v_div_scale_f32 v8, s0, v0, v3, v0
	v_fmac_f32_e32 v7, v9, v7
	v_mul_f32_e32 v9, v10, v6
	v_mul_f32_e32 v11, v8, v7
	v_fma_f32 v12, -v4, v9, v10
	v_fma_f32 v13, -v5, v11, v8
	v_fmac_f32_e32 v9, v12, v6
	s_waitcnt lgkmcnt(0)
	s_bitcmp0_b32 s22, 20
	v_fmac_f32_e32 v11, v13, v7
	v_fma_f32 v4, -v4, v9, v10
	v_fma_f32 v5, -v5, v11, v8
	v_div_fmas_f32 v4, v4, v6, v9
	s_mov_b32 vcc_lo, s0
	v_div_fmas_f32 v5, v5, v7, v11
	s_cselect_b32 vcc_lo, -1, 0
	s_bitcmp0_b32 s20, 15
	v_div_fixup_f32 v1, v4, v2, v1
	s_cselect_b32 s0, -1, 0
	s_bfe_u32 s2, s14, 0xe000e
	v_div_fixup_f32 v0, v5, v3, v0
	s_add_i32 s2, s2, 1
	v_cvt_f32_u32_e32 v5, s1
	v_cvt_f32_u32_e32 v3, s2
	v_add_f32_e32 v1, 0.5, v1
	v_add_f32_e32 v0, 0.5, v0
	s_sub_i32 s1, 0, s10
	s_add_i32 s2, s10, 0xff
	v_cndmask_b32_e64 v2, 1.0, v3, s0
	v_cndmask_b32_e64 v3, 1.0, v5, s0
	v_rcp_f32_e32 v4, v2
	v_mul_f32_e32 v2, v0, v2
	v_rcp_f32_e32 v5, v3
	v_mul_f32_e32 v3, v1, v3
	v_floor_f32_e32 v2, v2
	v_floor_f32_e32 v3, v3
	v_mul_f32_e32 v2, v4, v2
	v_mul_f32_e32 v3, v5, v3
	v_cndmask_b32_e32 v2, v0, v2, vcc_lo
	v_cndmask_b32_e32 v1, v1, v3, vcc_lo
	image_sample_lz v0, v[1:2], s[12:19], s[20:23] dmask:0x1 dim:SQ_RSRC_IMG_2D
	v_cvt_f32_u32_e32 v1, s10
	v_rcp_iflag_f32_e32 v1, v1
	v_mul_f32_e32 v1, 0x4f7ffffe, v1
	v_cvt_u32_f32_e32 v1, v1
	v_readfirstlane_b32 s0, v1
	s_mul_i32 s1, s1, s0
	s_mul_hi_u32 s1, s0, s1
	s_add_i32 s0, s0, s1
	s_mul_hi_u32 s0, s2, s0
	s_mul_i32 s1, s0, s10
	s_sub_i32 s1, s2, s1
	s_add_i32 s2, s0, 1
	s_sub_i32 s3, s1, s10
	s_cmp_ge_u32 s1, s10
	s_cselect_b32 s0, s2, s0
	s_cselect_b32 s1, s3, s1
	s_add_i32 s2, s0, 1
	s_cmp_ge_u32 s1, s10
	s_cselect_b32 s2, s2, s0
	v_cvt_f32_u32_e32 v1, s2
	s_sub_i32 s0, 0, s2
	v_rcp_iflag_f32_e32 v1, v1
	v_mul_f32_e32 v1, 0x4f7ffffe, v1
	v_cvt_u32_f32_e32 v1, v1
	v_mul_lo_u32 v2, s0, v1
	s_load_dwordx2 s[0:1], s[4:5], 0x0
	v_mul_hi_u32 v2, v1, v2
	v_add_nc_u32_e32 v1, v1, v2
	s_waitcnt vmcnt(0)
	v_and_b32_e32 v0, 0xff, v0
	v_mul_hi_u32 v1, v0, v1
	v_mul_lo_u32 v2, v1, s2
	v_sub_nc_u32_e32 v0, v0, v2
	v_add_nc_u32_e32 v2, 1, v1
	v_subrev_nc_u32_e32 v3, s2, v0
	v_cmp_le_u32_e32 vcc_lo, s2, v0
	v_cndmask_b32_e32 v1, v1, v2, vcc_lo
	v_cndmask_b32_e32 v0, v0, v3, vcc_lo
	v_add_nc_u32_e32 v2, 1, v1
	v_cmp_le_u32_e32 vcc_lo, s2, v0
	v_cndmask_b32_e32 v0, v1, v2, vcc_lo
	v_mov_b32_e32 v1, 1
	v_lshlrev_b32_e32 v0, 2, v0
	s_waitcnt lgkmcnt(0)
	global_atomic_add v0, v1, s[0:1]
.LBB0_2:
	s_endpgm
	.section	.rodata,"a",@progbits
	.p2align	6, 0x0
	.amdhsa_kernel _Z16histogram_kernelPjjjjP13__hip_texture
		.amdhsa_group_segment_fixed_size 0
		.amdhsa_private_segment_fixed_size 0
		.amdhsa_kernarg_size 288
		.amdhsa_user_sgpr_count 6
		.amdhsa_user_sgpr_private_segment_buffer 1
		.amdhsa_user_sgpr_dispatch_ptr 0
		.amdhsa_user_sgpr_queue_ptr 0
		.amdhsa_user_sgpr_kernarg_segment_ptr 1
		.amdhsa_user_sgpr_dispatch_id 0
		.amdhsa_user_sgpr_flat_scratch_init 0
		.amdhsa_user_sgpr_private_segment_size 0
		.amdhsa_wavefront_size32 1
		.amdhsa_uses_dynamic_stack 0
		.amdhsa_system_sgpr_private_segment_wavefront_offset 0
		.amdhsa_system_sgpr_workgroup_id_x 1
		.amdhsa_system_sgpr_workgroup_id_y 1
		.amdhsa_system_sgpr_workgroup_id_z 0
		.amdhsa_system_sgpr_workgroup_info 0
		.amdhsa_system_vgpr_workitem_id 1
		.amdhsa_next_free_vgpr 14
		.amdhsa_next_free_sgpr 24
		.amdhsa_reserve_vcc 1
		.amdhsa_reserve_flat_scratch 0
		.amdhsa_float_round_mode_32 0
		.amdhsa_float_round_mode_16_64 0
		.amdhsa_float_denorm_mode_32 3
		.amdhsa_float_denorm_mode_16_64 3
		.amdhsa_dx10_clamp 1
		.amdhsa_ieee_mode 1
		.amdhsa_fp16_overflow 0
		.amdhsa_workgroup_processor_mode 1
		.amdhsa_memory_ordered 1
		.amdhsa_forward_progress 1
		.amdhsa_shared_vgpr_count 0
		.amdhsa_exception_fp_ieee_invalid_op 0
		.amdhsa_exception_fp_denorm_src 0
		.amdhsa_exception_fp_ieee_div_zero 0
		.amdhsa_exception_fp_ieee_overflow 0
		.amdhsa_exception_fp_ieee_underflow 0
		.amdhsa_exception_fp_ieee_inexact 0
		.amdhsa_exception_int_div_zero 0
	.end_amdhsa_kernel
	.text
.Lfunc_end0:
	.size	_Z16histogram_kernelPjjjjP13__hip_texture, .Lfunc_end0-_Z16histogram_kernelPjjjjP13__hip_texture
                                        ; -- End function
	.set _Z16histogram_kernelPjjjjP13__hip_texture.num_vgpr, 14
	.set _Z16histogram_kernelPjjjjP13__hip_texture.num_agpr, 0
	.set _Z16histogram_kernelPjjjjP13__hip_texture.numbered_sgpr, 24
	.set _Z16histogram_kernelPjjjjP13__hip_texture.num_named_barrier, 0
	.set _Z16histogram_kernelPjjjjP13__hip_texture.private_seg_size, 0
	.set _Z16histogram_kernelPjjjjP13__hip_texture.uses_vcc, 1
	.set _Z16histogram_kernelPjjjjP13__hip_texture.uses_flat_scratch, 0
	.set _Z16histogram_kernelPjjjjP13__hip_texture.has_dyn_sized_stack, 0
	.set _Z16histogram_kernelPjjjjP13__hip_texture.has_recursion, 0
	.set _Z16histogram_kernelPjjjjP13__hip_texture.has_indirect_call, 0
	.section	.AMDGPU.csdata,"",@progbits
; Kernel info:
; codeLenInByte = 624
; TotalNumSgprs: 26
; NumVgprs: 14
; ScratchSize: 0
; MemoryBound: 0
; FloatMode: 240
; IeeeMode: 1
; LDSByteSize: 0 bytes/workgroup (compile time only)
; SGPRBlocks: 0
; VGPRBlocks: 1
; NumSGPRsForWavesPerEU: 26
; NumVGPRsForWavesPerEU: 14
; Occupancy: 16
; WaveLimiterHint : 0
; COMPUTE_PGM_RSRC2:SCRATCH_EN: 0
; COMPUTE_PGM_RSRC2:USER_SGPR: 6
; COMPUTE_PGM_RSRC2:TRAP_HANDLER: 0
; COMPUTE_PGM_RSRC2:TGID_X_EN: 1
; COMPUTE_PGM_RSRC2:TGID_Y_EN: 1
; COMPUTE_PGM_RSRC2:TGID_Z_EN: 0
; COMPUTE_PGM_RSRC2:TIDIG_COMP_CNT: 1
	.text
	.p2alignl 6, 3214868480
	.fill 48, 4, 3214868480
	.section	.AMDGPU.gpr_maximums,"",@progbits
	.set amdgpu.max_num_vgpr, 0
	.set amdgpu.max_num_agpr, 0
	.set amdgpu.max_num_sgpr, 0
	.text
	.type	__hip_cuid_af5629ad7f5445a9,@object ; @__hip_cuid_af5629ad7f5445a9
	.section	.bss,"aw",@nobits
	.globl	__hip_cuid_af5629ad7f5445a9
__hip_cuid_af5629ad7f5445a9:
	.byte	0                               ; 0x0
	.size	__hip_cuid_af5629ad7f5445a9, 1

	.ident	"AMD clang version 22.0.0git (https://github.com/RadeonOpenCompute/llvm-project roc-7.2.4 26084 f58b06dce1f9c15707c5f808fd002e18c2accf7e)"
	.section	".note.GNU-stack","",@progbits
	.addrsig
	.addrsig_sym __hip_cuid_af5629ad7f5445a9
	.amdgpu_metadata
---
amdhsa.kernels:
  - .args:
      - .address_space:  global
        .offset:         0
        .size:           8
        .value_kind:     global_buffer
      - .offset:         8
        .size:           4
        .value_kind:     by_value
      - .offset:         12
        .size:           4
        .value_kind:     by_value
      - .offset:         16
        .size:           4
        .value_kind:     by_value
      - .address_space:  global
        .offset:         24
        .size:           8
        .value_kind:     global_buffer
      - .offset:         32
        .size:           4
        .value_kind:     hidden_block_count_x
      - .offset:         36
        .size:           4
        .value_kind:     hidden_block_count_y
      - .offset:         40
        .size:           4
        .value_kind:     hidden_block_count_z
      - .offset:         44
        .size:           2
        .value_kind:     hidden_group_size_x
      - .offset:         46
        .size:           2
        .value_kind:     hidden_group_size_y
      - .offset:         48
        .size:           2
        .value_kind:     hidden_group_size_z
      - .offset:         50
        .size:           2
        .value_kind:     hidden_remainder_x
      - .offset:         52
        .size:           2
        .value_kind:     hidden_remainder_y
      - .offset:         54
        .size:           2
        .value_kind:     hidden_remainder_z
      - .offset:         72
        .size:           8
        .value_kind:     hidden_global_offset_x
      - .offset:         80
        .size:           8
        .value_kind:     hidden_global_offset_y
      - .offset:         88
        .size:           8
        .value_kind:     hidden_global_offset_z
      - .offset:         96
        .size:           2
        .value_kind:     hidden_grid_dims
    .group_segment_fixed_size: 0
    .kernarg_segment_align: 8
    .kernarg_segment_size: 288
    .language:       OpenCL C
    .language_version:
      - 2
      - 0
    .max_flat_workgroup_size: 1024
    .name:           _Z16histogram_kernelPjjjjP13__hip_texture
    .private_segment_fixed_size: 0
    .sgpr_count:     26
    .sgpr_spill_count: 0
    .symbol:         _Z16histogram_kernelPjjjjP13__hip_texture.kd
    .uniform_work_group_size: 1
    .uses_dynamic_stack: false
    .vgpr_count:     14
    .vgpr_spill_count: 0
    .wavefront_size: 32
    .workgroup_processor_mode: 1
amdhsa.target:   amdgcn-amd-amdhsa--gfx1030
amdhsa.version:
  - 1
  - 2
...

	.end_amdgpu_metadata
